;; amdgpu-corpus repo=ROCm/rocFFT kind=compiled arch=gfx1030 opt=O3
	.text
	.amdgcn_target "amdgcn-amd-amdhsa--gfx1030"
	.amdhsa_code_object_version 6
	.protected	fft_rtc_back_len121_factors_11_11_wgs_121_tpt_11_sp_op_CI_CI_sbcc_twdbase5_3step_dirReg ; -- Begin function fft_rtc_back_len121_factors_11_11_wgs_121_tpt_11_sp_op_CI_CI_sbcc_twdbase5_3step_dirReg
	.globl	fft_rtc_back_len121_factors_11_11_wgs_121_tpt_11_sp_op_CI_CI_sbcc_twdbase5_3step_dirReg
	.p2align	8
	.type	fft_rtc_back_len121_factors_11_11_wgs_121_tpt_11_sp_op_CI_CI_sbcc_twdbase5_3step_dirReg,@function
fft_rtc_back_len121_factors_11_11_wgs_121_tpt_11_sp_op_CI_CI_sbcc_twdbase5_3step_dirReg: ; @fft_rtc_back_len121_factors_11_11_wgs_121_tpt_11_sp_op_CI_CI_sbcc_twdbase5_3step_dirReg
; %bb.0:
	s_clause 0x1
	s_load_dwordx8 s[8:15], s[4:5], 0x8
	s_load_dwordx2 s[26:27], s[4:5], 0x28
	s_mov_b32 s0, exec_lo
	v_cmpx_gt_u32_e32 0x60, v0
	s_cbranch_execz .LBB0_2
; %bb.1:
	v_lshlrev_b32_e32 v3, 3, v0
	s_waitcnt lgkmcnt(0)
	global_load_dwordx2 v[1:2], v3, s[8:9]
	v_add_nc_u32_e32 v3, 0, v3
	s_waitcnt vmcnt(0)
	ds_write_b64 v3, v[1:2] offset:10648
.LBB0_2:
	s_or_b32 exec_lo, exec_lo, s0
	s_waitcnt lgkmcnt(0)
	s_load_dwordx2 s[28:29], s[12:13], 0x8
	s_waitcnt lgkmcnt(0)
	s_add_u32 s0, s28, -1
	s_addc_u32 s1, s29, -1
	s_add_u32 s2, 0, 0x5d161400
	s_addc_u32 s3, 0, 0x54
	s_mul_hi_u32 s8, s2, -11
	s_add_i32 s3, s3, 0x1745d120
	s_sub_i32 s8, s8, s2
	s_mul_i32 s16, s3, -11
	s_mul_i32 s7, s2, -11
	s_add_i32 s8, s8, s16
	s_mul_hi_u32 s9, s2, s7
	s_mul_i32 s18, s2, s8
	s_mul_hi_u32 s16, s2, s8
	s_mul_hi_u32 s17, s3, s7
	s_mul_i32 s7, s3, s7
	s_add_u32 s9, s9, s18
	s_addc_u32 s16, 0, s16
	s_mul_hi_u32 s19, s3, s8
	s_add_u32 s7, s9, s7
	s_mul_i32 s8, s3, s8
	s_addc_u32 s7, s16, s17
	s_addc_u32 s9, s19, 0
	s_add_u32 s7, s7, s8
	v_add_co_u32 v1, s2, s2, s7
	s_addc_u32 s7, 0, s9
	s_cmp_lg_u32 s2, 0
	s_addc_u32 s2, s3, s7
	v_readfirstlane_b32 s3, v1
	s_mul_i32 s8, s0, s2
	s_mul_hi_u32 s7, s0, s2
	s_mul_hi_u32 s9, s1, s2
	s_mul_i32 s2, s1, s2
	s_mul_hi_u32 s16, s0, s3
	s_mul_hi_u32 s17, s1, s3
	s_mul_i32 s3, s1, s3
	s_add_u32 s8, s16, s8
	s_addc_u32 s7, 0, s7
	s_add_u32 s3, s8, s3
	s_addc_u32 s3, s7, s17
	s_addc_u32 s7, s9, 0
	s_add_u32 s2, s3, s2
	s_addc_u32 s3, 0, s7
	s_mul_i32 s8, s2, 11
	s_add_u32 s7, s2, 1
	v_sub_co_u32 v1, s0, s0, s8
	s_mul_hi_u32 s8, s2, 11
	s_addc_u32 s9, s3, 0
	s_mul_i32 s16, s3, 11
	v_sub_co_u32 v2, s17, v1, 11
	s_add_u32 s18, s2, 2
	s_addc_u32 s19, s3, 0
	s_add_i32 s8, s8, s16
	s_cmp_lg_u32 s0, 0
	v_readfirstlane_b32 s0, v2
	s_subb_u32 s1, s1, s8
	s_cmp_lg_u32 s17, 0
	s_subb_u32 s8, s1, 0
	s_cmp_gt_u32 s0, 10
	s_cselect_b32 s0, -1, 0
	s_cmp_eq_u32 s8, 0
	v_readfirstlane_b32 s8, v1
	s_cselect_b32 s0, s0, -1
	s_cmp_lg_u32 s0, 0
	s_cselect_b32 s0, s18, s7
	s_cselect_b32 s9, s19, s9
	s_cmp_gt_u32 s8, 10
	s_cselect_b32 s7, -1, 0
	s_cmp_eq_u32 s1, 0
	s_cselect_b32 s1, s7, -1
	s_mov_b32 s7, 0
	s_cmp_lg_u32 s1, 0
	s_cselect_b32 s0, s0, s2
	s_cselect_b32 s1, s9, s3
	s_add_u32 s34, s0, 1
	s_addc_u32 s35, s1, 0
	s_mov_b64 s[8:9], 0
	v_cmp_lt_u64_e64 s0, s[6:7], s[34:35]
	s_and_b32 vcc_lo, exec_lo, s0
	s_cbranch_vccnz .LBB0_4
; %bb.3:
	v_cvt_f32_u32_e32 v1, s34
	s_sub_i32 s1, 0, s34
	s_mov_b32 s9, s7
	v_rcp_iflag_f32_e32 v1, v1
	v_mul_f32_e32 v1, 0x4f7ffffe, v1
	v_cvt_u32_f32_e32 v1, v1
	v_readfirstlane_b32 s0, v1
	s_mul_i32 s1, s1, s0
	s_mul_hi_u32 s1, s0, s1
	s_add_i32 s0, s0, s1
	s_mul_hi_u32 s0, s6, s0
	s_mul_i32 s1, s0, s34
	s_add_i32 s2, s0, 1
	s_sub_i32 s1, s6, s1
	s_sub_i32 s3, s1, s34
	s_cmp_ge_u32 s1, s34
	s_cselect_b32 s0, s2, s0
	s_cselect_b32 s1, s3, s1
	s_add_i32 s2, s0, 1
	s_cmp_ge_u32 s1, s34
	s_cselect_b32 s8, s2, s0
.LBB0_4:
	s_load_dwordx4 s[20:23], s[14:15], 0x0
	s_load_dwordx4 s[0:3], s[26:27], 0x0
	s_clause 0x1
	s_load_dwordx4 s[16:19], s[4:5], 0x60
	s_load_dwordx2 s[24:25], s[4:5], 0x0
	s_mul_i32 s4, s8, s35
	s_mul_hi_u32 s5, s8, s34
	s_mul_i32 s30, s8, s34
	s_add_i32 s5, s5, s4
	s_sub_u32 s48, s6, s30
	s_subb_u32 s4, 0, s5
	s_mul_hi_u32 s33, s48, 11
	s_mul_i32 s4, s4, 11
	v_cmp_lt_u64_e64 s36, s[10:11], 3
	s_add_i32 s33, s33, s4
	s_mul_i32 s48, s48, 11
	s_and_b32 vcc_lo, exec_lo, s36
	s_waitcnt lgkmcnt(0)
	s_mul_i32 s4, s22, s33
	s_mul_hi_u32 s5, s22, s48
	s_mul_i32 s37, s2, s33
	s_mul_hi_u32 s38, s2, s48
	s_mul_i32 s31, s23, s48
	s_mul_i32 s39, s3, s48
	s_add_i32 s4, s5, s4
	s_add_i32 s5, s38, s37
	s_mul_i32 s30, s22, s48
	s_add_i32 s31, s4, s31
	s_add_i32 s5, s5, s39
	s_mul_i32 s4, s2, s48
	s_cbranch_vccnz .LBB0_14
; %bb.5:
	s_add_u32 s36, s26, 16
	s_addc_u32 s37, s27, 0
	s_add_u32 s38, s14, 16
	s_addc_u32 s39, s15, 0
	;; [unrolled: 2-line block ×3, first 2 shown]
	s_mov_b64 s[40:41], 2
	s_mov_b32 s42, 0
.LBB0_6:                                ; =>This Inner Loop Header: Depth=1
	s_load_dwordx2 s[44:45], s[12:13], 0x0
	s_waitcnt lgkmcnt(0)
	s_or_b64 s[46:47], s[8:9], s[44:45]
	s_mov_b32 s43, s47
                                        ; implicit-def: $sgpr46_sgpr47
	s_cmp_lg_u64 s[42:43], 0
	s_mov_b32 s43, -1
	s_cbranch_scc0 .LBB0_8
; %bb.7:                                ;   in Loop: Header=BB0_6 Depth=1
	v_cvt_f32_u32_e32 v1, s44
	v_cvt_f32_u32_e32 v2, s45
	s_sub_u32 s47, 0, s44
	s_subb_u32 s49, 0, s45
	v_fmac_f32_e32 v1, 0x4f800000, v2
	v_rcp_f32_e32 v1, v1
	v_mul_f32_e32 v1, 0x5f7ffffc, v1
	v_mul_f32_e32 v2, 0x2f800000, v1
	v_trunc_f32_e32 v2, v2
	v_fmac_f32_e32 v1, 0xcf800000, v2
	v_cvt_u32_f32_e32 v2, v2
	v_cvt_u32_f32_e32 v1, v1
	v_readfirstlane_b32 s43, v2
	v_readfirstlane_b32 s46, v1
	s_mul_i32 s50, s47, s43
	s_mul_hi_u32 s52, s47, s46
	s_mul_i32 s51, s49, s46
	s_add_i32 s50, s52, s50
	s_mul_i32 s53, s47, s46
	s_add_i32 s50, s50, s51
	s_mul_hi_u32 s52, s46, s53
	s_mul_hi_u32 s54, s43, s53
	s_mul_i32 s51, s43, s53
	s_mul_hi_u32 s53, s46, s50
	s_mul_i32 s46, s46, s50
	s_mul_hi_u32 s55, s43, s50
	s_add_u32 s46, s52, s46
	s_addc_u32 s52, 0, s53
	s_add_u32 s46, s46, s51
	s_mul_i32 s50, s43, s50
	s_addc_u32 s46, s52, s54
	s_addc_u32 s51, s55, 0
	s_add_u32 s46, s46, s50
	s_addc_u32 s50, 0, s51
	v_add_co_u32 v1, s46, v1, s46
	s_cmp_lg_u32 s46, 0
	s_addc_u32 s43, s43, s50
	v_readfirstlane_b32 s46, v1
	s_mul_i32 s50, s47, s43
	s_mul_hi_u32 s51, s47, s46
	s_mul_i32 s49, s49, s46
	s_add_i32 s50, s51, s50
	s_mul_i32 s47, s47, s46
	s_add_i32 s50, s50, s49
	s_mul_hi_u32 s51, s43, s47
	s_mul_i32 s52, s43, s47
	s_mul_hi_u32 s47, s46, s47
	s_mul_hi_u32 s53, s46, s50
	s_mul_i32 s46, s46, s50
	s_mul_hi_u32 s49, s43, s50
	s_add_u32 s46, s47, s46
	s_addc_u32 s47, 0, s53
	s_add_u32 s46, s46, s52
	s_mul_i32 s50, s43, s50
	s_addc_u32 s46, s47, s51
	s_addc_u32 s47, s49, 0
	s_add_u32 s46, s46, s50
	s_addc_u32 s47, 0, s47
	v_add_co_u32 v1, s46, v1, s46
	s_cmp_lg_u32 s46, 0
	s_addc_u32 s43, s43, s47
	v_readfirstlane_b32 s46, v1
	s_mul_i32 s49, s8, s43
	s_mul_hi_u32 s47, s8, s43
	s_mul_hi_u32 s50, s9, s43
	s_mul_i32 s43, s9, s43
	s_mul_hi_u32 s51, s8, s46
	s_mul_hi_u32 s52, s9, s46
	s_mul_i32 s46, s9, s46
	s_add_u32 s49, s51, s49
	s_addc_u32 s47, 0, s47
	s_add_u32 s46, s49, s46
	s_addc_u32 s46, s47, s52
	s_addc_u32 s47, s50, 0
	s_add_u32 s46, s46, s43
	s_addc_u32 s47, 0, s47
	s_mul_hi_u32 s43, s44, s46
	s_mul_i32 s50, s44, s47
	s_mul_i32 s51, s44, s46
	s_add_i32 s43, s43, s50
	v_sub_co_u32 v1, s50, s8, s51
	s_mul_i32 s49, s45, s46
	s_add_i32 s43, s43, s49
	v_sub_co_u32 v2, s51, v1, s44
	s_sub_i32 s49, s9, s43
	s_cmp_lg_u32 s50, 0
	s_subb_u32 s49, s49, s45
	s_cmp_lg_u32 s51, 0
	v_readfirstlane_b32 s51, v2
	s_subb_u32 s49, s49, 0
	s_cmp_ge_u32 s49, s45
	s_cselect_b32 s52, -1, 0
	s_cmp_ge_u32 s51, s44
	s_cselect_b32 s51, -1, 0
	s_cmp_eq_u32 s49, s45
	s_cselect_b32 s49, s51, s52
	s_add_u32 s51, s46, 1
	s_addc_u32 s52, s47, 0
	s_add_u32 s53, s46, 2
	s_addc_u32 s54, s47, 0
	s_cmp_lg_u32 s49, 0
	s_cselect_b32 s49, s53, s51
	s_cselect_b32 s51, s54, s52
	s_cmp_lg_u32 s50, 0
	v_readfirstlane_b32 s50, v1
	s_subb_u32 s43, s9, s43
	s_cmp_ge_u32 s43, s45
	s_cselect_b32 s52, -1, 0
	s_cmp_ge_u32 s50, s44
	s_cselect_b32 s50, -1, 0
	s_cmp_eq_u32 s43, s45
	s_cselect_b32 s43, s50, s52
	s_cmp_lg_u32 s43, 0
	s_mov_b32 s43, 0
	s_cselect_b32 s47, s51, s47
	s_cselect_b32 s46, s49, s46
.LBB0_8:                                ;   in Loop: Header=BB0_6 Depth=1
	s_andn2_b32 vcc_lo, exec_lo, s43
	s_cbranch_vccnz .LBB0_10
; %bb.9:                                ;   in Loop: Header=BB0_6 Depth=1
	v_cvt_f32_u32_e32 v1, s44
	s_sub_i32 s46, 0, s44
	v_rcp_iflag_f32_e32 v1, v1
	v_mul_f32_e32 v1, 0x4f7ffffe, v1
	v_cvt_u32_f32_e32 v1, v1
	v_readfirstlane_b32 s43, v1
	s_mul_i32 s46, s46, s43
	s_mul_hi_u32 s46, s43, s46
	s_add_i32 s43, s43, s46
	s_mul_hi_u32 s43, s8, s43
	s_mul_i32 s46, s43, s44
	s_add_i32 s47, s43, 1
	s_sub_i32 s46, s8, s46
	s_sub_i32 s49, s46, s44
	s_cmp_ge_u32 s46, s44
	s_cselect_b32 s43, s47, s43
	s_cselect_b32 s46, s49, s46
	s_add_i32 s47, s43, 1
	s_cmp_ge_u32 s46, s44
	s_cselect_b32 s46, s47, s43
	s_mov_b32 s47, s42
.LBB0_10:                               ;   in Loop: Header=BB0_6 Depth=1
	s_load_dwordx2 s[50:51], s[38:39], 0x0
	s_load_dwordx2 s[52:53], s[36:37], 0x0
	s_mul_i32 s35, s44, s35
	s_mul_hi_u32 s43, s44, s34
	s_mul_i32 s49, s45, s34
	s_mul_i32 s45, s46, s45
	s_mul_hi_u32 s54, s46, s44
	s_mul_i32 s55, s47, s44
	s_add_i32 s35, s43, s35
	s_add_i32 s43, s54, s45
	s_mul_i32 s56, s46, s44
	s_add_i32 s35, s35, s49
	s_add_i32 s43, s43, s55
	s_sub_u32 s8, s8, s56
	s_subb_u32 s9, s9, s43
	s_mul_i32 s34, s44, s34
	s_waitcnt lgkmcnt(0)
	s_mul_i32 s43, s50, s9
	s_mul_hi_u32 s45, s50, s8
	s_mul_i32 s49, s51, s8
	s_add_i32 s43, s45, s43
	s_mul_i32 s50, s50, s8
	s_mul_i32 s9, s52, s9
	s_mul_hi_u32 s45, s52, s8
	s_add_i32 s43, s43, s49
	s_add_u32 s30, s50, s30
	s_addc_u32 s31, s43, s31
	s_add_i32 s9, s45, s9
	s_mul_i32 s43, s53, s8
	s_mul_i32 s8, s52, s8
	s_add_i32 s9, s9, s43
	s_add_u32 s4, s8, s4
	s_addc_u32 s5, s9, s5
	s_add_u32 s40, s40, 1
	s_addc_u32 s41, s41, 0
	s_add_u32 s36, s36, 8
	v_cmp_ge_u64_e64 s8, s[40:41], s[10:11]
	s_addc_u32 s37, s37, 0
	s_add_u32 s38, s38, 8
	s_addc_u32 s39, s39, 0
	s_add_u32 s12, s12, 8
	s_addc_u32 s13, s13, 0
	s_and_b32 vcc_lo, exec_lo, s8
	s_cbranch_vccnz .LBB0_12
; %bb.11:                               ;   in Loop: Header=BB0_6 Depth=1
	s_mov_b64 s[8:9], s[46:47]
	s_branch .LBB0_6
.LBB0_12:
	v_cmp_lt_u64_e64 s7, s[6:7], s[34:35]
	s_mov_b64 s[8:9], 0
	s_and_b32 vcc_lo, exec_lo, s7
	s_cbranch_vccnz .LBB0_14
; %bb.13:
	v_cvt_f32_u32_e32 v1, s34
	s_sub_i32 s8, 0, s34
	v_rcp_iflag_f32_e32 v1, v1
	v_mul_f32_e32 v1, 0x4f7ffffe, v1
	v_cvt_u32_f32_e32 v1, v1
	v_readfirstlane_b32 s7, v1
	s_mul_i32 s8, s8, s7
	s_mul_hi_u32 s8, s7, s8
	s_add_i32 s7, s7, s8
	s_mul_hi_u32 s7, s6, s7
	s_mul_i32 s8, s7, s34
	s_sub_i32 s6, s6, s8
	s_add_i32 s8, s7, 1
	s_sub_i32 s9, s6, s34
	s_cmp_ge_u32 s6, s34
	s_cselect_b32 s7, s8, s7
	s_cselect_b32 s6, s9, s6
	s_add_i32 s8, s7, 1
	s_cmp_ge_u32 s6, s34
	s_cselect_b32 s8, s8, s7
.LBB0_14:
	v_mul_hi_u32 v25, 0x1745d175, v0
	s_lshl_b64 s[10:11], s[10:11], 3
                                        ; implicit-def: $vgpr12
                                        ; implicit-def: $vgpr19
                                        ; implicit-def: $vgpr14
                                        ; implicit-def: $vgpr6
                                        ; implicit-def: $vgpr8
                                        ; implicit-def: $vgpr2
                                        ; implicit-def: $vgpr23
                                        ; implicit-def: $vgpr21
                                        ; implicit-def: $vgpr16
                                        ; implicit-def: $vgpr10
                                        ; implicit-def: $vgpr4
	s_add_u32 s6, s26, s10
	s_addc_u32 s7, s27, s11
	s_add_u32 s12, s48, 11
	s_addc_u32 s13, s33, 0
	v_mul_u32_u24_e32 v1, 11, v25
	v_sub_nc_u32_e32 v24, v0, v1
	v_add_co_u32 v17, s9, s48, v24
	v_add_co_ci_u32_e64 v18, null, s33, 0, s9
	v_cmp_le_u64_e64 s9, s[12:13], s[28:29]
	v_cmp_gt_u64_e32 vcc_lo, s[28:29], v[17:18]
	s_or_b32 s9, s9, vcc_lo
	s_and_saveexec_b32 s12, s9
	s_cbranch_execz .LBB0_16
; %bb.15:
	s_add_u32 s10, s14, s10
	s_addc_u32 s11, s15, s11
	v_mad_u64_u32 v[1:2], null, s22, v24, 0
	s_load_dwordx2 s[10:11], s[10:11], 0x0
	v_mad_u64_u32 v[3:4], null, s20, v25, 0
	v_add_nc_u32_e32 v12, 11, v25
	v_add_nc_u32_e32 v13, 22, v25
	;; [unrolled: 1-line block ×5, first 2 shown]
	v_mad_u64_u32 v[5:6], null, s20, v12, 0
	v_mad_u64_u32 v[9:10], null, s23, v24, v[2:3]
	;; [unrolled: 1-line block ×4, first 2 shown]
	v_mov_b32_e32 v2, v9
	s_waitcnt lgkmcnt(0)
	s_mul_i32 s11, s11, s8
	s_mul_hi_u32 s13, s10, s8
	s_mul_i32 s10, s10, s8
	s_add_i32 s11, s13, s11
	v_lshlrev_b64 v[1:2], 3, v[1:2]
	s_lshl_b64 s[10:11], s[10:11], 3
	v_mov_b32_e32 v4, v10
	s_add_u32 s13, s16, s10
	s_addc_u32 s14, s17, s11
	s_lshl_b64 s[10:11], s[30:31], 3
	v_mad_u64_u32 v[9:10], null, s21, v12, v[6:7]
	v_add_nc_u32_e32 v12, 33, v25
	s_add_u32 s10, s13, s10
	s_addc_u32 s11, s14, s11
	v_add_co_u32 v32, vcc_lo, s10, v1
	v_add_co_ci_u32_e32 v33, vcc_lo, s11, v2, vcc_lo
	v_lshlrev_b64 v[1:2], 3, v[3:4]
	v_mov_b32_e32 v3, v8
	v_mad_u64_u32 v[10:11], null, s20, v12, 0
	v_mov_b32_e32 v6, v9
	v_mad_u64_u32 v[3:4], null, s21, v13, v[3:4]
	v_add_nc_u32_e32 v13, 44, v25
	v_lshlrev_b64 v[5:6], 3, v[5:6]
	v_mov_b32_e32 v4, v11
	v_add_co_u32 v1, vcc_lo, v32, v1
	v_mad_u64_u32 v[15:16], null, s20, v13, 0
	v_mov_b32_e32 v8, v3
	v_mad_u64_u32 v[3:4], null, s21, v12, v[4:5]
	v_add_co_ci_u32_e32 v2, vcc_lo, v33, v2, vcc_lo
	v_add_co_u32 v4, vcc_lo, v32, v5
	v_add_co_ci_u32_e32 v5, vcc_lo, v33, v6, vcc_lo
	v_mov_b32_e32 v11, v3
	v_lshlrev_b64 v[6:7], 3, v[7:8]
	v_mov_b32_e32 v3, v16
	v_mad_u64_u32 v[8:9], null, s20, v14, 0
	v_lshlrev_b64 v[10:11], 3, v[10:11]
	v_mad_u64_u32 v[12:13], null, s21, v13, v[3:4]
	v_add_co_u32 v6, vcc_lo, v32, v6
	v_add_co_ci_u32_e32 v7, vcc_lo, v33, v7, vcc_lo
	v_mov_b32_e32 v3, v9
	v_add_co_u32 v9, vcc_lo, v32, v10
	v_add_co_ci_u32_e32 v10, vcc_lo, v33, v11, vcc_lo
	v_mov_b32_e32 v16, v12
	v_mad_u64_u32 v[20:21], null, s21, v14, v[3:4]
	s_clause 0x3
	global_load_dwordx2 v[11:12], v[1:2], off
	global_load_dwordx2 v[18:19], v[4:5], off
	;; [unrolled: 1-line block ×4, first 2 shown]
	v_mad_u64_u32 v[21:22], null, s20, v23, 0
	v_add_nc_u32_e32 v10, 0x4d, v25
	v_lshlrev_b64 v[1:2], 3, v[15:16]
	v_mov_b32_e32 v9, v20
	v_add_nc_u32_e32 v20, 0x58, v25
	v_mad_u64_u32 v[15:16], null, s20, v10, 0
	v_mov_b32_e32 v3, v22
	v_lshlrev_b64 v[7:8], 3, v[8:9]
	v_mad_u64_u32 v[26:27], null, s20, v20, 0
	v_add_co_u32 v1, vcc_lo, v32, v1
	v_mad_u64_u32 v[3:4], null, s21, v23, v[3:4]
	v_mov_b32_e32 v4, v16
	v_add_nc_u32_e32 v23, 0x63, v25
	v_add_co_ci_u32_e32 v2, vcc_lo, v33, v2, vcc_lo
	v_add_co_u32 v30, vcc_lo, v32, v7
	v_mov_b32_e32 v22, v3
	v_add_co_ci_u32_e32 v31, vcc_lo, v33, v8, vcc_lo
	v_lshlrev_b64 v[7:8], 3, v[21:22]
	s_waitcnt vmcnt(0)
	v_mad_u64_u32 v[3:4], null, s21, v10, v[4:5]
	v_mov_b32_e32 v4, v27
	v_mad_u64_u32 v[9:10], null, s20, v23, 0
	v_mad_u64_u32 v[27:28], null, s21, v20, v[4:5]
	;; [unrolled: 1-line block ×3, first 2 shown]
	v_mov_b32_e32 v4, v10
	v_mov_b32_e32 v16, v3
	v_add_co_u32 v20, vcc_lo, v32, v7
	v_add_co_ci_u32_e32 v21, vcc_lo, v33, v8, vcc_lo
	v_mad_u64_u32 v[3:4], null, s21, v23, v[4:5]
	v_mov_b32_e32 v4, v29
	v_lshlrev_b64 v[7:8], 3, v[15:16]
	v_lshlrev_b64 v[22:23], 3, v[26:27]
	v_mad_u64_u32 v[15:16], null, s21, v34, v[4:5]
	v_mov_b32_e32 v10, v3
	v_add_co_u32 v26, vcc_lo, v32, v7
	v_add_co_ci_u32_e32 v27, vcc_lo, v33, v8, vcc_lo
	v_lshlrev_b64 v[3:4], 3, v[9:10]
	v_mov_b32_e32 v29, v15
	v_add_co_u32 v15, vcc_lo, v32, v22
	v_add_co_ci_u32_e32 v16, vcc_lo, v33, v23, vcc_lo
	v_lshlrev_b64 v[7:8], 3, v[28:29]
	v_add_co_u32 v22, vcc_lo, v32, v3
	v_add_co_ci_u32_e32 v23, vcc_lo, v33, v4, vcc_lo
	v_add_co_u32 v28, vcc_lo, v32, v7
	v_add_co_ci_u32_e32 v29, vcc_lo, v33, v8, vcc_lo
	s_clause 0x6
	global_load_dwordx2 v[7:8], v[1:2], off
	global_load_dwordx2 v[1:2], v[30:31], off
	;; [unrolled: 1-line block ×7, first 2 shown]
.LBB0_16:
	s_or_b32 exec_lo, exec_lo, s12
	v_add_f32_e32 v26, v11, v18
	v_add_f32_e32 v27, v12, v19
	s_waitcnt vmcnt(0)
	v_add_f32_e32 v28, v18, v22
	v_sub_f32_e32 v30, v18, v22
	v_sub_f32_e32 v29, v19, v23
	v_add_f32_e32 v26, v26, v13
	v_add_f32_e32 v27, v27, v14
	;; [unrolled: 1-line block ×3, first 2 shown]
	v_mul_f32_e32 v33, 0xbf68dda4, v30
	v_mul_f32_e32 v32, 0xbf68dda4, v29
	v_add_f32_e32 v18, v26, v5
	v_add_f32_e32 v19, v27, v6
	v_mul_f32_e32 v34, 0xbf7d64f0, v29
	v_mul_f32_e32 v26, 0xbf0a6770, v29
	v_fmamk_f32 v38, v28, 0x3ed4b147, v32
	v_add_f32_e32 v18, v18, v7
	v_add_f32_e32 v19, v19, v8
	v_fma_f32 v32, 0x3ed4b147, v28, -v32
	v_mul_f32_e32 v27, 0xbf0a6770, v30
	v_mul_f32_e32 v35, 0xbf7d64f0, v30
	v_add_f32_e32 v18, v18, v1
	v_add_f32_e32 v19, v19, v2
	v_fma_f32 v39, 0x3ed4b147, v31, -v33
	v_fmac_f32_e32 v33, 0x3ed4b147, v31
	v_fmamk_f32 v40, v28, 0xbe11bafb, v34
	v_add_f32_e32 v18, v18, v3
	v_add_f32_e32 v19, v19, v4
	v_mul_f32_e32 v42, 0xbf4178ce, v30
	v_mul_f32_e32 v30, 0xbe903f40, v30
	v_sub_f32_e32 v46, v14, v21
	v_add_f32_e32 v18, v9, v18
	v_add_f32_e32 v19, v10, v19
	;; [unrolled: 1-line block ×3, first 2 shown]
	v_sub_f32_e32 v13, v13, v20
	v_fmamk_f32 v36, v28, 0x3f575c64, v26
	v_add_f32_e32 v18, v15, v18
	v_add_f32_e32 v19, v16, v19
	v_fma_f32 v37, 0x3f575c64, v31, -v27
	v_fma_f32 v26, 0x3f575c64, v28, -v26
	v_fmac_f32_e32 v27, 0x3f575c64, v31
	v_add_f32_e32 v18, v20, v18
	v_add_f32_e32 v19, v21, v19
	v_fma_f32 v34, 0xbe11bafb, v28, -v34
	v_fma_f32 v43, 0xbf27a4f4, v31, -v42
	v_fmac_f32_e32 v42, 0xbf27a4f4, v31
	v_add_f32_e32 v18, v22, v18
	v_add_f32_e32 v22, v11, v32
	v_mul_f32_e32 v32, 0xbf4178ce, v29
	v_mul_f32_e32 v29, 0xbe903f40, v29
	v_add_f32_e32 v19, v23, v19
	v_add_f32_e32 v23, v12, v33
	v_add_f32_e32 v33, v11, v40
	v_fma_f32 v40, 0xbe11bafb, v31, -v35
	v_fmac_f32_e32 v35, 0xbe11bafb, v31
	v_fmamk_f32 v41, v28, 0xbf27a4f4, v32
	v_fma_f32 v32, 0xbf27a4f4, v28, -v32
	v_fmamk_f32 v44, v28, 0xbf75a155, v29
	v_fma_f32 v45, 0xbf75a155, v31, -v30
	v_mul_f32_e32 v20, 0xbf68dda4, v46
	v_fma_f32 v28, 0xbf75a155, v28, -v29
	v_fmac_f32_e32 v30, 0xbf75a155, v31
	v_add_f32_e32 v14, v14, v21
	v_mul_f32_e32 v21, 0xbf68dda4, v13
	v_add_f32_e32 v36, v11, v36
	v_add_f32_e32 v37, v12, v37
	;; [unrolled: 1-line block ×15, first 2 shown]
	v_fmamk_f32 v29, v47, 0x3ed4b147, v20
	v_add_f32_e32 v11, v11, v28
	v_add_f32_e32 v12, v12, v30
	v_mul_f32_e32 v28, 0xbf4178ce, v46
	v_fma_f32 v30, 0x3ed4b147, v14, -v21
	v_fmac_f32_e32 v21, 0x3ed4b147, v14
	v_add_f32_e32 v29, v36, v29
	v_fma_f32 v20, 0x3ed4b147, v47, -v20
	v_fmamk_f32 v31, v47, 0xbf27a4f4, v28
	v_add_f32_e32 v30, v37, v30
	v_mul_f32_e32 v36, 0xbf4178ce, v13
	v_add_f32_e32 v21, v27, v21
	v_mul_f32_e32 v27, 0x3e903f40, v46
	v_fma_f32 v28, 0xbf27a4f4, v47, -v28
	v_mul_f32_e32 v37, 0x3e903f40, v13
	v_add_f32_e32 v20, v26, v20
	v_add_f32_e32 v26, v38, v31
	v_fma_f32 v31, 0xbf27a4f4, v14, -v36
	v_fmac_f32_e32 v36, 0xbf27a4f4, v14
	v_fmamk_f32 v38, v47, 0xbf75a155, v27
	v_add_f32_e32 v22, v22, v28
	v_fma_f32 v28, 0xbf75a155, v14, -v37
	v_fma_f32 v27, 0xbf75a155, v47, -v27
	v_fmac_f32_e32 v37, 0xbf75a155, v14
	v_add_f32_e32 v23, v23, v36
	v_add_f32_e32 v33, v33, v38
	v_mul_f32_e32 v36, 0x3f7d64f0, v46
	v_mul_f32_e32 v38, 0x3f7d64f0, v13
	v_add_f32_e32 v27, v34, v27
	v_add_f32_e32 v34, v35, v37
	v_mul_f32_e32 v35, 0x3f0a6770, v46
	v_add_f32_e32 v31, v39, v31
	v_add_f32_e32 v28, v40, v28
	v_fmamk_f32 v39, v47, 0xbe11bafb, v36
	v_fma_f32 v37, 0xbe11bafb, v14, -v38
	v_fma_f32 v36, 0xbe11bafb, v47, -v36
	v_fmac_f32_e32 v38, 0xbe11bafb, v14
	v_fmamk_f32 v40, v47, 0x3f575c64, v35
	v_mul_f32_e32 v13, 0x3f0a6770, v13
	v_add_f32_e32 v39, v41, v39
	v_add_f32_e32 v32, v32, v36
	;; [unrolled: 1-line block ×4, first 2 shown]
	v_sub_f32_e32 v40, v6, v16
	v_sub_f32_e32 v42, v5, v15
	v_fma_f32 v41, 0x3f575c64, v14, -v13
	v_fma_f32 v35, 0x3f575c64, v47, -v35
	v_add_f32_e32 v5, v5, v15
	v_mul_f32_e32 v15, 0xbf7d64f0, v40
	v_fmac_f32_e32 v13, 0x3f575c64, v14
	v_add_f32_e32 v6, v6, v16
	v_mul_f32_e32 v14, 0xbf7d64f0, v42
	v_add_f32_e32 v16, v45, v41
	v_fmamk_f32 v41, v5, 0xbe11bafb, v15
	v_add_f32_e32 v11, v11, v35
	v_add_f32_e32 v12, v12, v13
	v_fma_f32 v13, 0xbe11bafb, v6, -v14
	v_mul_f32_e32 v35, 0x3e903f40, v40
	v_fma_f32 v15, 0xbe11bafb, v5, -v15
	v_add_f32_e32 v29, v29, v41
	v_fmac_f32_e32 v14, 0xbe11bafb, v6
	v_add_f32_e32 v13, v30, v13
	v_fmamk_f32 v30, v5, 0xbf75a155, v35
	v_mul_f32_e32 v41, 0x3e903f40, v42
	v_add_f32_e32 v15, v20, v15
	v_mul_f32_e32 v20, 0x3f68dda4, v40
	v_add_f32_e32 v37, v43, v37
	v_add_f32_e32 v14, v21, v14
	;; [unrolled: 1-line block ×3, first 2 shown]
	v_fma_f32 v26, 0xbf75a155, v6, -v41
	v_fma_f32 v30, 0xbf75a155, v5, -v35
	v_fmamk_f32 v35, v5, 0x3ed4b147, v20
	v_mul_f32_e32 v43, 0x3f68dda4, v42
	v_fma_f32 v20, 0x3ed4b147, v5, -v20
	v_add_f32_e32 v26, v31, v26
	v_add_f32_e32 v22, v22, v30
	;; [unrolled: 1-line block ×3, first 2 shown]
	v_fma_f32 v31, 0x3ed4b147, v6, -v43
	v_fmac_f32_e32 v43, 0x3ed4b147, v6
	v_mul_f32_e32 v35, 0xbf0a6770, v42
	v_mul_f32_e32 v33, 0xbf0a6770, v40
	v_add_f32_e32 v20, v27, v20
	v_mul_f32_e32 v40, 0xbf4178ce, v40
	v_add_f32_e32 v27, v34, v43
	v_fma_f32 v34, 0x3f575c64, v6, -v35
	v_add_f32_e32 v28, v28, v31
	v_fmamk_f32 v31, v5, 0x3f575c64, v33
	v_fma_f32 v33, 0x3f575c64, v5, -v33
	v_fmac_f32_e32 v35, 0x3f575c64, v6
	v_add_f32_e32 v34, v37, v34
	v_fmamk_f32 v37, v5, 0xbf27a4f4, v40
	v_add_f32_e32 v31, v39, v31
	v_mul_f32_e32 v39, 0xbf4178ce, v42
	v_add_f32_e32 v32, v32, v33
	v_add_f32_e32 v33, v36, v35
	v_sub_f32_e32 v35, v8, v10
	v_add_f32_e32 v36, v38, v37
	v_add_f32_e32 v38, v7, v9
	v_sub_f32_e32 v7, v7, v9
	v_fmac_f32_e32 v41, 0xbf75a155, v6
	v_fma_f32 v37, 0xbf27a4f4, v6, -v39
	v_mul_f32_e32 v9, 0xbf4178ce, v35
	v_fma_f32 v5, 0xbf27a4f4, v5, -v40
	v_fmac_f32_e32 v39, 0xbf27a4f4, v6
	v_add_f32_e32 v6, v8, v10
	v_mul_f32_e32 v8, 0xbf4178ce, v7
	v_fmamk_f32 v10, v38, 0xbf27a4f4, v9
	v_add_f32_e32 v5, v11, v5
	v_add_f32_e32 v11, v12, v39
	v_fma_f32 v9, 0xbf27a4f4, v38, -v9
	v_fma_f32 v12, 0xbf27a4f4, v6, -v8
	v_add_f32_e32 v10, v29, v10
	v_mul_f32_e32 v29, 0x3f7d64f0, v35
	v_fmac_f32_e32 v8, 0xbf27a4f4, v6
	v_add_f32_e32 v16, v16, v37
	v_add_f32_e32 v12, v13, v12
	v_mul_f32_e32 v13, 0x3f7d64f0, v7
	v_fmamk_f32 v37, v38, 0xbe11bafb, v29
	v_add_f32_e32 v9, v15, v9
	v_add_f32_e32 v8, v14, v8
	v_mul_f32_e32 v14, 0xbf0a6770, v35
	v_fma_f32 v15, 0xbe11bafb, v6, -v13
	v_add_f32_e32 v23, v23, v41
	v_add_f32_e32 v21, v21, v37
	v_fma_f32 v29, 0xbe11bafb, v38, -v29
	v_fmac_f32_e32 v13, 0xbe11bafb, v6
	v_fmamk_f32 v37, v38, 0x3f575c64, v14
	v_add_f32_e32 v15, v26, v15
	v_mul_f32_e32 v26, 0xbf0a6770, v7
	v_add_f32_e32 v22, v22, v29
	v_add_f32_e32 v13, v23, v13
	;; [unrolled: 1-line block ×3, first 2 shown]
	v_mul_f32_e32 v29, 0xbe903f40, v35
	v_fma_f32 v30, 0x3f575c64, v6, -v26
	v_fma_f32 v14, 0x3f575c64, v38, -v14
	v_mul_f32_e32 v37, 0xbe903f40, v7
	v_fmac_f32_e32 v26, 0x3f575c64, v6
	v_fmamk_f32 v39, v38, 0xbf75a155, v29
	v_add_f32_e32 v28, v28, v30
	v_add_f32_e32 v14, v20, v14
	v_fma_f32 v20, 0xbf75a155, v6, -v37
	v_add_f32_e32 v30, v27, v26
	v_mul_f32_e32 v27, 0x3f68dda4, v35
	v_fma_f32 v29, 0xbf75a155, v38, -v29
	v_mul_f32_e32 v7, 0x3f68dda4, v7
	v_add_f32_e32 v26, v31, v39
	v_add_f32_e32 v20, v34, v20
	v_fmamk_f32 v31, v38, 0x3ed4b147, v27
	v_add_f32_e32 v29, v32, v29
	v_sub_f32_e32 v32, v2, v4
	v_fma_f32 v34, 0x3ed4b147, v6, -v7
	v_add_f32_e32 v35, v1, v3
	v_add_f32_e32 v31, v36, v31
	v_fmac_f32_e32 v37, 0xbf75a155, v6
	v_mul_f32_e32 v36, 0xbe903f40, v32
	v_add_f32_e32 v16, v16, v34
	v_sub_f32_e32 v34, v1, v3
	v_fma_f32 v1, 0x3ed4b147, v38, -v27
	v_add_f32_e32 v27, v2, v4
	v_fmamk_f32 v3, v35, 0xbf75a155, v36
	v_add_f32_e32 v33, v33, v37
	v_mul_f32_e32 v4, 0xbe903f40, v34
	v_fmac_f32_e32 v7, 0x3ed4b147, v6
	v_add_f32_e32 v37, v5, v1
	v_add_f32_e32 v1, v10, v3
	v_mul_f32_e32 v6, 0x3f0a6770, v32
	v_fma_f32 v2, 0xbf75a155, v27, -v4
	v_fma_f32 v3, 0xbf75a155, v35, -v36
	v_fmac_f32_e32 v4, 0xbf75a155, v27
	v_mul_f32_e32 v10, 0x3f0a6770, v34
	v_add_f32_e32 v38, v11, v7
	v_fmamk_f32 v5, v35, 0x3f575c64, v6
	v_add_f32_e32 v3, v9, v3
	v_add_f32_e32 v4, v8, v4
	v_fma_f32 v7, 0x3f575c64, v27, -v10
	v_fma_f32 v8, 0x3f575c64, v35, -v6
	v_mul_f32_e32 v9, 0xbf4178ce, v32
	v_fmac_f32_e32 v10, 0x3f575c64, v27
	v_mul_f32_e32 v36, 0xbf4178ce, v34
	s_load_dwordx2 s[6:7], s[6:7], 0x0
	v_add_f32_e32 v2, v12, v2
	v_add_f32_e32 v5, v21, v5
	;; [unrolled: 1-line block ×4, first 2 shown]
	v_fmamk_f32 v11, v35, 0xbf27a4f4, v9
	v_add_f32_e32 v8, v13, v10
	v_mul_f32_e32 v13, 0x3f68dda4, v32
	v_fma_f32 v12, 0xbf27a4f4, v27, -v36
	v_fma_f32 v9, 0xbf27a4f4, v35, -v9
	v_mul_f32_e32 v21, 0x3f68dda4, v34
	v_add_f32_e32 v10, v23, v11
	v_fmamk_f32 v15, v35, 0x3ed4b147, v13
	v_add_f32_e32 v11, v28, v12
	v_add_f32_e32 v12, v14, v9
	v_fma_f32 v9, 0x3ed4b147, v27, -v21
	v_fma_f32 v13, 0x3ed4b147, v35, -v13
	v_mul_f32_e32 v22, 0xbf7d64f0, v32
	v_mul_f32_e32 v28, 0xbf7d64f0, v34
	v_add_f32_e32 v14, v26, v15
	v_add_f32_e32 v15, v20, v9
	v_mad_u32_u24 v9, 0x3c8, v25, 0
	v_add_f32_e32 v20, v29, v13
	v_fmamk_f32 v13, v35, 0xbe11bafb, v22
	v_fma_f32 v23, 0xbe11bafb, v27, -v28
	v_fmac_f32_e32 v21, 0x3ed4b147, v27
	v_fma_f32 v26, 0xbe11bafb, v35, -v22
	v_fmac_f32_e32 v28, 0xbe11bafb, v27
	v_fmac_f32_e32 v36, 0xbf27a4f4, v27
	v_lshl_add_u32 v29, v24, 3, v9
	v_add_f32_e32 v22, v31, v13
	v_add_f32_e32 v23, v16, v23
	;; [unrolled: 1-line block ×6, first 2 shown]
	ds_write2_b64 v29, v[18:19], v[1:2] offset1:11
	ds_write2_b64 v29, v[5:6], v[10:11] offset0:22 offset1:33
	ds_write2_b64 v29, v[14:15], v[22:23] offset0:44 offset1:55
	;; [unrolled: 1-line block ×4, first 2 shown]
	ds_write_b64 v29, v[3:4] offset:880
	s_waitcnt lgkmcnt(0)
	s_barrier
	buffer_gl0_inv
	s_and_saveexec_b32 s10, s9
	s_cbranch_execz .LBB0_18
; %bb.17:
	v_mul_hi_u32 v1, 0x1745d175, v25
	v_lshlrev_b32_e32 v11, 3, v24
	v_mul_lo_u32 v19, v17, -11
	s_add_i32 s9, 0, 0x2998
	v_mul_hi_u32 v0, 0x21d9eae, v0
	s_mul_i32 s7, s7, s8
	s_mul_hi_u32 s10, s6, s8
	s_mul_i32 s6, s6, s8
	v_mul_u32_u24_e32 v1, 11, v1
	s_add_i32 s7, s10, s7
	v_sub_nc_u32_e32 v18, v25, v1
	v_mul_u32_u24_e32 v1, 10, v18
	v_lshlrev_b32_e32 v10, 3, v1
	s_clause 0x4
	global_load_dwordx4 v[1:4], v10, s[24:25] offset:64
	global_load_dwordx4 v[5:8], v10, s[24:25] offset:48
	;; [unrolled: 1-line block ×4, first 2 shown]
	global_load_dwordx4 v[45:48], v10, s[24:25]
	v_mul_i32_i24_e32 v10, 0xfffffc90, v25
	v_add3_u32 v9, v9, v10, v11
	v_add_nc_u32_e32 v10, 0x6e, v18
	v_add_nc_u32_e32 v20, 0x1c00, v9
	v_mul_lo_u32 v21, v10, v17
	v_add_nc_u32_e32 v22, 0x1400, v9
	v_add_nc_u32_e32 v23, 0xc00, v9
	ds_read_b64 v[37:38], v9 offset:9680
	v_add_nc_u32_e32 v25, 0x400, v9
	ds_read2_b64 v[9:12], v9 offset1:121
	ds_read2_b64 v[49:52], v20 offset0:72 offset1:193
	ds_read2_b64 v[53:56], v22 offset0:86 offset1:207
	;; [unrolled: 1-line block ×3, first 2 shown]
	v_mul_lo_u32 v17, v18, v17
	v_add_nc_u32_e32 v22, v21, v19
	v_lshrrev_b32_e32 v20, 2, v21
	ds_read2_b64 v[61:64], v25 offset0:114 offset1:235
	v_and_b32_e32 v23, 31, v21
	v_lshrrev_b32_e32 v21, 7, v21
	v_and_b32_e32 v25, 31, v22
	v_lshrrev_b32_e32 v26, 2, v22
	v_add_nc_u32_e32 v27, v22, v19
	v_and_b32_e32 v20, 0xf8, v20
	v_and_b32_e32 v21, 0xf8, v21
	v_lshl_add_u32 v31, v25, 3, 0
	v_and_b32_e32 v25, 0xf8, v26
	v_lshrrev_b32_e32 v26, 7, v27
	v_lshrrev_b32_e32 v22, 7, v22
	v_add_nc_u32_e32 v20, s9, v20
	v_and_b32_e32 v28, 31, v27
	v_lshrrev_b32_e32 v29, 2, v27
	v_add_nc_u32_e32 v27, v27, v19
	v_lshl_add_u32 v23, v23, 3, 0
	v_add_nc_u32_e32 v30, s9, v21
	v_and_b32_e32 v34, 0xf8, v26
	v_and_b32_e32 v32, 0xf8, v22
	ds_read_b64 v[20:21], v20 offset:256
	v_lshl_add_u32 v35, v28, 3, 0
	v_and_b32_e32 v28, 0xf8, v29
	v_lshrrev_b32_e32 v29, 7, v27
	v_and_b32_e32 v36, 31, v27
	v_lshrrev_b32_e32 v39, 2, v27
	v_add_nc_u32_e32 v27, v27, v19
	v_add_nc_u32_e32 v33, s9, v25
	ds_read_b64 v[22:23], v23 offset:10648
	ds_read_b64 v[25:26], v30 offset:512
	v_add_nc_u32_e32 v30, s9, v34
	v_add_nc_u32_e32 v40, s9, v32
	v_lshl_add_u32 v67, v36, 3, 0
	v_and_b32_e32 v36, 0xf8, v39
	v_lshrrev_b32_e32 v39, 7, v27
	v_lshrrev_b32_e32 v69, 2, v27
	v_add_nc_u32_e32 v70, v27, v19
	v_add_nc_u32_e32 v65, s9, v28
	v_and_b32_e32 v66, 0xf8, v29
	v_and_b32_e32 v68, 31, v27
	ds_read_b64 v[27:28], v33 offset:256
	ds_read_b64 v[29:30], v30 offset:512
	;; [unrolled: 1-line block ×4, first 2 shown]
	v_add_nc_u32_e32 v72, s9, v36
	v_and_b32_e32 v73, 0xf8, v39
	v_and_b32_e32 v69, 0xf8, v69
	v_lshrrev_b32_e32 v76, 2, v70
	v_add_nc_u32_e32 v77, v70, v19
	ds_read_b64 v[35:36], v35 offset:10648
	ds_read_b64 v[39:40], v65 offset:256
	v_add_nc_u32_e32 v71, s9, v66
	v_lshl_add_u32 v74, v68, 3, 0
	v_and_b32_e32 v75, 31, v70
	ds_read_b64 v[65:66], v67 offset:10648
	ds_read_b64 v[67:68], v71 offset:512
	v_add_nc_u32_e32 v71, s9, v69
	v_and_b32_e32 v81, 0xf8, v76
	v_lshrrev_b32_e32 v82, 7, v77
	v_and_b32_e32 v83, 31, v77
	v_lshrrev_b32_e32 v84, 2, v77
	v_add_nc_u32_e32 v77, v77, v19
	v_lshrrev_b32_e32 v78, 7, v70
	ds_read_b64 v[69:70], v72 offset:256
	v_add_nc_u32_e32 v79, s9, v73
	v_lshl_add_u32 v80, v75, 3, 0
	s_waitcnt lgkmcnt(10)
	v_mul_f32_e32 v85, v23, v21
	v_mul_f32_e32 v86, v22, v21
	ds_read_b64 v[71:72], v71 offset:256
	ds_read_b64 v[73:74], v74 offset:10648
	ds_read_b64 v[75:76], v79 offset:512
	v_add_nc_u32_e32 v79, s9, v81
	v_and_b32_e32 v81, 0xf8, v82
	v_lshl_add_u32 v82, v83, 3, 0
	v_and_b32_e32 v83, 0xf8, v84
	v_lshrrev_b32_e32 v84, 7, v77
	v_and_b32_e32 v87, 31, v77
	v_lshrrev_b32_e32 v88, 2, v77
	v_add_nc_u32_e32 v21, v77, v19
	v_and_b32_e32 v78, 0xf8, v78
	v_fma_f32 v85, v22, v20, -v85
	v_fmac_f32_e32 v86, v23, v20
	s_waitcnt lgkmcnt(9)
	v_mul_f32_e32 v20, v32, v28
	v_mul_f32_e32 v89, v31, v28
	v_add_nc_u32_e32 v28, s9, v81
	v_add_nc_u32_e32 v81, s9, v83
	v_and_b32_e32 v83, 0xf8, v84
	v_lshl_add_u32 v84, v87, 3, 0
	v_and_b32_e32 v87, 0xf8, v88
	v_lshrrev_b32_e32 v88, 7, v21
	v_lshrrev_b32_e32 v91, 2, v21
	v_add_nc_u32_e32 v77, s9, v78
	s_waitcnt lgkmcnt(6)
	v_mul_f32_e32 v92, v36, v40
	v_mul_f32_e32 v93, v35, v40
	;; [unrolled: 1-line block ×4, first 2 shown]
	v_add_nc_u32_e32 v26, s9, v87
	v_fma_f32 v20, v31, v27, -v20
	v_fmac_f32_e32 v89, v32, v27
	ds_read_b64 v[22:23], v79 offset:256
	ds_read_b64 v[27:28], v28 offset:512
	;; [unrolled: 1-line block ×4, first 2 shown]
	v_and_b32_e32 v87, 0xf8, v88
	v_and_b32_e32 v88, 0xf8, v91
	;; [unrolled: 1-line block ×3, first 2 shown]
	v_add_nc_u32_e32 v83, s9, v83
	ds_read_b64 v[79:80], v82 offset:10648
	ds_read_b64 v[81:82], v81 offset:256
	v_fma_f32 v85, v25, v85, -v40
	v_fmac_f32_e32 v94, v25, v86
	ds_read_b64 v[25:26], v26 offset:256
	v_fma_f32 v91, v35, v39, -v92
	v_fmac_f32_e32 v93, v36, v39
	s_waitcnt lgkmcnt(10)
	v_mul_f32_e32 v36, v66, v70
	v_mul_f32_e32 v92, v65, v70
	;; [unrolled: 1-line block ×4, first 2 shown]
	v_add_nc_u32_e32 v88, s9, v88
	ds_read_b64 v[34:35], v84 offset:10648
	ds_read_b64 v[39:40], v83 offset:512
	v_lshl_add_u32 v90, v90, 3, 0
	v_add_nc_u32_e32 v83, s9, v87
	v_fma_f32 v36, v65, v69, -v36
	v_fmac_f32_e32 v92, v66, v69
	v_fma_f32 v95, v33, v20, -v70
	ds_read_b64 v[65:66], v88 offset:256
	ds_read_b64 v[69:70], v90 offset:10648
	;; [unrolled: 1-line block ×3, first 2 shown]
	s_waitcnt lgkmcnt(13)
	v_mul_f32_e32 v87, v74, v72
	v_mul_f32_e32 v72, v73, v72
	v_fmac_f32_e32 v86, v33, v89
	v_mul_f32_e32 v20, v93, v30
	v_mul_f32_e32 v89, v91, v30
	s_waitcnt lgkmcnt(9)
	v_mul_f32_e32 v33, v32, v23
	v_fmac_f32_e32 v72, v74, v71
	v_mul_f32_e32 v23, v31, v23
	v_fma_f32 v30, v73, v71, -v87
	v_fma_f32 v71, v29, v91, -v20
	v_mul_f32_e32 v20, v92, v68
	v_fmac_f32_e32 v89, v29, v93
	v_mul_f32_e32 v68, v36, v68
	v_fma_f32 v29, v31, v22, -v33
	v_fmac_f32_e32 v23, v32, v22
	s_waitcnt lgkmcnt(6)
	v_mul_f32_e32 v22, v79, v82
	v_mul_f32_e32 v31, v72, v76
	s_waitcnt lgkmcnt(4)
	v_mul_f32_e32 v32, v35, v26
	v_fma_f32 v73, v67, v36, -v20
	v_mul_f32_e32 v20, v80, v82
	v_fmac_f32_e32 v68, v67, v92
	v_mul_f32_e32 v67, v30, v76
	v_fmac_f32_e32 v22, v80, v81
	v_mul_f32_e32 v26, v34, v26
	v_fma_f32 v74, v75, v30, -v31
	v_mul_f32_e32 v30, v23, v78
	v_fma_f32 v31, v34, v25, -v32
	s_waitcnt lgkmcnt(1)
	v_mul_f32_e32 v32, v69, v66
	v_fma_f32 v20, v79, v81, -v20
	v_fmac_f32_e32 v67, v75, v72
	v_mul_f32_e32 v72, v29, v78
	v_fmac_f32_e32 v26, v35, v25
	v_mul_f32_e32 v25, v70, v66
	v_fma_f32 v66, v77, v29, -v30
	v_mul_f32_e32 v29, v22, v28
	v_fmac_f32_e32 v32, v70, v65
	v_fmac_f32_e32 v72, v77, v23
	v_mul_f32_e32 v75, v20, v28
	v_fma_f32 v23, v69, v65, -v25
	v_fma_f32 v65, v27, v20, -v29
	v_mul_f32_e32 v20, v26, v40
	s_waitcnt lgkmcnt(0)
	v_mul_f32_e32 v25, v32, v84
	v_mul_f32_e32 v40, v31, v40
	;; [unrolled: 1-line block ×3, first 2 shown]
	v_fmac_f32_e32 v75, v27, v22
	v_fma_f32 v36, v39, v31, -v20
	v_fma_f32 v20, v83, v23, -v25
	v_fmac_f32_e32 v40, v39, v26
	v_fmac_f32_e32 v34, v83, v32
	v_add_nc_u32_e32 v19, v21, v19
	s_waitcnt vmcnt(4)
	v_mul_f32_e32 v22, v38, v4
	v_mul_f32_e32 v4, v37, v4
	;; [unrolled: 1-line block ×4, first 2 shown]
	s_waitcnt vmcnt(0)
	v_mul_f32_e32 v69, v46, v12
	v_mul_f32_e32 v46, v46, v11
	;; [unrolled: 1-line block ×8, first 2 shown]
	v_fmac_f32_e32 v22, v37, v3
	v_fma_f32 v14, v38, v3, -v4
	v_fmac_f32_e32 v23, v51, v1
	v_fma_f32 v16, v52, v1, -v2
	v_fmac_f32_e32 v69, v45, v11
	v_fma_f32 v1, v45, v12, -v46
	v_mul_f32_e32 v25, v50, v8
	v_mul_f32_e32 v8, v49, v8
	;; [unrolled: 1-line block ×6, first 2 shown]
	v_fmac_f32_e32 v33, v47, v61
	v_fma_f32 v37, v47, v62, -v48
	v_sub_f32_e32 v2, v69, v22
	v_sub_f32_e32 v4, v1, v14
	v_mul_f32_e32 v30, v44, v58
	v_mul_f32_e32 v44, v44, v57
	v_fmac_f32_e32 v25, v49, v7
	v_fma_f32 v29, v50, v7, -v8
	v_fmac_f32_e32 v26, v55, v5
	v_fma_f32 v31, v56, v5, -v6
	;; [unrolled: 2-line block ×5, first 2 shown]
	v_add_f32_e32 v3, v1, v14
	v_add_f32_e32 v5, v69, v22
	;; [unrolled: 1-line block ×3, first 2 shown]
	v_sub_f32_e32 v45, v33, v23
	v_sub_f32_e32 v46, v37, v16
	v_mul_f32_e32 v1, 0xbf0a6770, v2
	v_mul_f32_e32 v6, 0xbf68dda4, v2
	;; [unrolled: 1-line block ×6, first 2 shown]
	v_fmac_f32_e32 v30, v43, v57
	v_fma_f32 v35, v43, v58, -v44
	v_add_f32_e32 v43, v37, v16
	v_add_f32_e32 v42, v33, v23
	v_sub_f32_e32 v47, v32, v25
	v_sub_f32_e32 v48, v11, v29
	v_mul_f32_e32 v57, 0xbf68dda4, v4
	v_mul_f32_e32 v58, 0xbf7d64f0, v4
	;; [unrolled: 1-line block ×7, first 2 shown]
	v_fmamk_f32 v96, v3, 0xbf75a155, v2
	v_fma_f32 v2, 0xbf75a155, v3, -v2
	v_fmamk_f32 v99, v3, 0x3ed4b147, v6
	v_fmamk_f32 v100, v3, 0x3f575c64, v1
	v_fma_f32 v1, 0x3f575c64, v3, -v1
	v_fma_f32 v104, 0x3f575c64, v5, -v54
	v_add_f32_e32 v51, v11, v29
	v_add_f32_e32 v41, v32, v25
	v_mul_f32_e32 v62, 0xbf7d64f0, v47
	v_mul_f32_e32 v63, 0xbf7d64f0, v48
	v_mul_f32_e32 v78, 0xbf4178ce, v46
	v_mul_f32_e32 v79, 0x3e903f40, v47
	v_mul_f32_e32 v87, 0x3e903f40, v45
	v_mul_f32_e32 v88, 0x3e903f40, v46
	v_fmamk_f32 v97, v3, 0xbf27a4f4, v8
	v_fma_f32 v8, 0xbf27a4f4, v3, -v8
	v_fmamk_f32 v98, v3, 0xbe11bafb, v7
	v_fma_f32 v7, 0xbe11bafb, v3, -v7
	v_fma_f32 v6, 0x3ed4b147, v3, -v6
	;; [unrolled: 1-line block ×3, first 2 shown]
	v_fmac_f32_e32 v4, 0xbf75a155, v5
	v_fma_f32 v101, 0xbf27a4f4, v5, -v59
	v_fmac_f32_e32 v59, 0xbf27a4f4, v5
	v_fma_f32 v102, 0xbe11bafb, v5, -v58
	;; [unrolled: 2-line block ×3, first 2 shown]
	v_fmac_f32_e32 v57, 0x3ed4b147, v5
	v_fmac_f32_e32 v54, 0x3f575c64, v5
	v_fmamk_f32 v5, v43, 0x3ed4b147, v60
	v_add_f32_e32 v100, v100, v10
	v_add_f32_e32 v104, v104, v9
	;; [unrolled: 1-line block ×5, first 2 shown]
	v_fma_f32 v1, 0x3ed4b147, v42, -v61
	v_fmamk_f32 v2, v43, 0xbf27a4f4, v77
	v_add_f32_e32 v12, v69, v9
	v_sub_f32_e32 v49, v30, v26
	v_sub_f32_e32 v50, v35, v31
	v_mul_f32_e32 v80, 0x3e903f40, v48
	v_mul_f32_e32 v90, 0x3f68dda4, v47
	;; [unrolled: 1-line block ×3, first 2 shown]
	v_add_f32_e32 v103, v103, v9
	v_add_f32_e32 v98, v98, v10
	;; [unrolled: 1-line block ×14, first 2 shown]
	v_fma_f32 v4, 0xbf27a4f4, v42, -v78
	v_add_f32_e32 v1, v1, v104
	v_fmamk_f32 v5, v43, 0xbf75a155, v87
	v_add_f32_e32 v2, v2, v99
	v_fma_f32 v6, 0xbf75a155, v42, -v88
	v_fmamk_f32 v7, v51, 0xbe11bafb, v62
	v_fma_f32 v8, 0xbe11bafb, v41, -v63
	v_fmamk_f32 v9, v51, 0xbf75a155, v79
	v_add_f32_e32 v44, v35, v31
	v_add_f32_e32 v38, v30, v26
	v_mul_f32_e32 v64, 0xbf4178ce, v49
	v_mul_f32_e32 v69, 0xbf4178ce, v50
	;; [unrolled: 1-line block ×3, first 2 shown]
	v_add_f32_e32 v4, v4, v103
	v_add_f32_e32 v5, v5, v98
	v_add_f32_e32 v6, v6, v102
	v_add_f32_e32 v3, v7, v3
	v_fma_f32 v7, 0xbf75a155, v41, -v80
	v_add_f32_e32 v1, v8, v1
	v_fmamk_f32 v8, v51, 0x3ed4b147, v90
	v_add_f32_e32 v2, v9, v2
	v_fma_f32 v9, 0x3ed4b147, v41, -v91
	v_sub_f32_e32 v52, v13, v15
	v_sub_f32_e32 v53, v28, v27
	v_mul_f32_e32 v82, 0x3f7d64f0, v50
	v_mul_f32_e32 v92, 0xbf0a6770, v49
	;; [unrolled: 1-line block ×3, first 2 shown]
	v_add_f32_e32 v4, v7, v4
	v_fmamk_f32 v7, v44, 0xbf27a4f4, v64
	v_add_f32_e32 v5, v8, v5
	v_fma_f32 v8, 0xbf27a4f4, v38, -v69
	v_add_f32_e32 v6, v9, v6
	v_fmamk_f32 v9, v44, 0xbe11bafb, v81
	v_add_f32_e32 v55, v28, v27
	v_add_f32_e32 v56, v13, v15
	v_mul_f32_e32 v70, 0xbe903f40, v52
	v_mul_f32_e32 v76, 0xbe903f40, v53
	v_mul_f32_e32 v83, 0x3f0a6770, v52
	v_add_f32_e32 v3, v7, v3
	v_fma_f32 v7, 0xbe11bafb, v38, -v82
	v_add_f32_e32 v1, v8, v1
	v_fmamk_f32 v8, v44, 0x3f575c64, v92
	v_add_f32_e32 v2, v9, v2
	v_fma_f32 v9, 0x3f575c64, v38, -v93
	v_mul_f32_e32 v84, 0x3f0a6770, v53
	v_mul_f32_e32 v54, 0xbf4178ce, v52
	v_mul_f32_e32 v113, 0xbf4178ce, v53
	v_add_f32_e32 v4, v7, v4
	v_fma_f32 v7, 0xbf75a155, v55, -v70
	v_add_f32_e32 v5, v8, v5
	v_fmamk_f32 v8, v56, 0xbf75a155, v76
	v_add_f32_e32 v6, v9, v6
	v_fma_f32 v9, 0x3f575c64, v55, -v83
	v_add_f32_e32 v7, v7, v1
	v_fmamk_f32 v1, v56, 0x3f575c64, v84
	;; [unrolled: 4-line block ×3, first 2 shown]
	v_add_f32_e32 v97, v97, v10
	v_add_f32_e32 v96, v96, v10
	;; [unrolled: 1-line block ×5, first 2 shown]
	v_mul_f32_e32 v1, v3, v94
	v_mul_f32_e32 v2, v7, v94
	;; [unrolled: 1-line block ×5, first 2 shown]
	v_fmac_f32_e32 v1, v7, v85
	v_mul_f32_e32 v7, v8, v89
	v_mul_f32_e32 v5, v6, v89
	v_fma_f32 v2, v3, v85, -v2
	v_mul_f32_e32 v3, v10, v86
	v_fma_f32 v4, v10, v95, -v4
	v_fmamk_f32 v10, v43, 0xbe11bafb, v94
	v_fma_f32 v6, v6, v71, -v7
	v_mul_f32_e32 v85, 0xbf0a6770, v47
	v_fmac_f32_e32 v5, v8, v71
	v_fma_f32 v7, 0xbe11bafb, v42, -v98
	v_mul_f32_e32 v71, 0xbf0a6770, v48
	v_fmac_f32_e32 v3, v9, v95
	v_add_f32_e32 v8, v10, v97
	v_fmamk_f32 v9, v51, 0x3f575c64, v85
	v_mul_f32_e32 v86, 0xbe903f40, v49
	v_add_f32_e32 v7, v7, v101
	v_fma_f32 v10, 0x3f575c64, v41, -v71
	v_mul_f32_e32 v89, 0xbe903f40, v50
	v_add_f32_e32 v8, v9, v8
	v_fmamk_f32 v9, v44, 0xbf75a155, v86
	v_mul_f32_e32 v95, 0x3f68dda4, v52
	v_add_f32_e32 v7, v10, v7
	v_fma_f32 v10, 0xbf75a155, v38, -v89
	v_mul_f32_e32 v97, 0x3f68dda4, v53
	v_add_f32_e32 v8, v9, v8
	v_fma_f32 v9, 0x3ed4b147, v55, -v95
	v_mul_f32_e32 v47, 0xbf4178ce, v47
	v_add_f32_e32 v7, v10, v7
	v_mul_f32_e32 v48, 0xbf4178ce, v48
	v_mul_f32_e32 v49, 0x3f68dda4, v49
	;; [unrolled: 1-line block ×4, first 2 shown]
	v_add_f32_e32 v9, v9, v7
	v_fmamk_f32 v7, v56, 0x3ed4b147, v97
	v_mul_f32_e32 v53, 0xbf7d64f0, v53
	v_fmac_f32_e32 v98, 0xbe11bafb, v42
	v_fmac_f32_e32 v71, 0x3f575c64, v41
	v_mul_f32_e32 v10, v9, v68
	v_add_f32_e32 v8, v7, v8
	v_fmac_f32_e32 v89, 0xbf75a155, v38
	v_fmac_f32_e32 v95, 0x3ed4b147, v55
	v_fmac_f32_e32 v88, 0xbf75a155, v42
	v_fmac_f32_e32 v78, 0xbf27a4f4, v42
	v_mul_f32_e32 v7, v8, v68
	v_fma_f32 v8, v8, v73, -v10
	v_mul_f32_e32 v10, 0x3f0a6770, v45
	v_mul_f32_e32 v45, 0x3f0a6770, v46
	v_fmamk_f32 v68, v51, 0xbf27a4f4, v47
	v_fmac_f32_e32 v7, v9, v73
	v_fma_f32 v73, 0xbf27a4f4, v41, -v48
	v_fmamk_f32 v46, v43, 0x3f575c64, v10
	v_fma_f32 v9, 0x3f575c64, v42, -v45
	v_fma_f32 v10, 0x3f575c64, v43, -v10
	v_fmac_f32_e32 v45, 0x3f575c64, v42
	v_fma_f32 v47, 0xbf27a4f4, v51, -v47
	v_add_f32_e32 v46, v46, v96
	v_add_f32_e32 v9, v9, v105
	;; [unrolled: 1-line block ×4, first 2 shown]
	v_fmac_f32_e32 v48, 0xbf27a4f4, v41
	v_add_f32_e32 v46, v68, v46
	v_fmamk_f32 v68, v44, 0x3ed4b147, v49
	v_add_f32_e32 v9, v73, v9
	v_fma_f32 v73, 0x3ed4b147, v38, -v50
	v_add_f32_e32 v47, v47, v10
	v_fma_f32 v49, 0x3ed4b147, v44, -v49
	;; [unrolled: 2-line block ×3, first 2 shown]
	v_add_f32_e32 v9, v73, v9
	v_fmamk_f32 v73, v56, 0xbe11bafb, v53
	v_add_f32_e32 v45, v48, v45
	v_fmac_f32_e32 v50, 0x3ed4b147, v38
	v_fmac_f32_e32 v52, 0xbe11bafb, v55
	v_add_f32_e32 v68, v68, v9
	v_add_f32_e32 v46, v73, v46
	;; [unrolled: 1-line block ×4, first 2 shown]
	v_fmac_f32_e32 v91, 0x3ed4b147, v41
	v_mul_f32_e32 v73, v68, v67
	v_mul_f32_e32 v9, v46, v67
	v_add_f32_e32 v48, v71, v48
	v_add_f32_e32 v50, v52, v45
	v_fma_f32 v45, 0xbe11bafb, v56, -v53
	v_fma_f32 v10, v46, v74, -v73
	v_add_f32_e32 v46, v49, v47
	v_fma_f32 v47, 0xbe11bafb, v43, -v94
	v_fma_f32 v49, 0x3f575c64, v51, -v85
	v_add_f32_e32 v48, v89, v48
	v_mul_f32_e32 v52, v50, v72
	v_add_f32_e32 v46, v45, v46
	v_add_f32_e32 v47, v47, v108
	;; [unrolled: 1-line block ×4, first 2 shown]
	v_fmac_f32_e32 v80, 0xbf75a155, v41
	v_mul_f32_e32 v45, v46, v72
	v_add_f32_e32 v47, v49, v47
	v_fma_f32 v49, 0xbf75a155, v44, -v86
	v_fma_f32 v46, v46, v66, -v52
	;; [unrolled: 1-line block ×3, first 2 shown]
	v_fmac_f32_e32 v45, v50, v66
	v_mul_f32_e32 v50, v53, v75
	v_add_f32_e32 v47, v49, v47
	v_fma_f32 v49, 0x3ed4b147, v56, -v97
	v_fmac_f32_e32 v93, 0x3f575c64, v38
	v_add_f32_e32 v57, v80, v57
	v_fmac_f32_e32 v82, 0xbe11bafb, v38
	v_fmac_f32_e32 v54, 0xbf27a4f4, v55
	v_add_f32_e32 v48, v49, v47
	v_fma_f32 v49, 0xbf75a155, v43, -v87
	v_fmac_f32_e32 v83, 0x3f575c64, v55
	v_add_f32_e32 v57, v82, v57
	v_fmac_f32_e32 v61, 0x3ed4b147, v42
	v_mul_f32_e32 v47, v48, v75
	v_add_f32_e32 v49, v49, v109
	v_fma_f32 v48, v48, v65, -v50
	v_add_f32_e32 v50, v88, v58
	v_fma_f32 v58, 0xbf27a4f4, v56, -v113
	v_fmac_f32_e32 v47, v53, v65
	v_add_f32_e32 v49, v52, v49
	v_fma_f32 v52, 0x3f575c64, v44, -v92
	v_fma_f32 v53, 0xbf27a4f4, v43, -v77
	v_add_f32_e32 v50, v91, v50
	v_add_f32_e32 v57, v83, v57
	;; [unrolled: 1-line block ×5, first 2 shown]
	v_fma_f32 v53, 0xbf75a155, v51, -v79
	v_add_f32_e32 v50, v93, v50
	v_fma_f32 v51, 0xbe11bafb, v51, -v62
	v_add_f32_e32 v11, v42, v11
	v_add_f32_e32 v12, v12, v33
	v_add_f32_e32 v52, v53, v52
	v_fma_f32 v53, 0xbe11bafb, v44, -v81
	v_add_f32_e32 v54, v54, v50
	v_add_f32_e32 v50, v58, v49
	v_fmac_f32_e32 v63, 0xbe11bafb, v41
	v_add_f32_e32 v35, v11, v35
	v_add_f32_e32 v52, v53, v52
	v_fma_f32 v53, 0x3f575c64, v56, -v84
	v_mul_f32_e32 v58, v54, v40
	v_mul_f32_e32 v49, v50, v40
	v_mul_f32_e32 v40, v57, v34
	v_fmac_f32_e32 v69, 0xbf27a4f4, v38
	v_add_f32_e32 v21, v53, v52
	v_lshrrev_b32_e32 v53, 2, v19
	v_fma_f32 v50, v50, v36, -v58
	v_fmac_f32_e32 v49, v54, v36
	v_fma_f32 v36, 0x3ed4b147, v43, -v60
	v_fma_f32 v52, v21, v20, -v40
	v_and_b32_e32 v40, 31, v19
	v_and_b32_e32 v43, 0xf8, v53
	v_lshrrev_b32_e32 v53, 7, v17
	v_lshrrev_b32_e32 v19, 7, v19
	v_add_f32_e32 v36, v36, v111
	v_lshl_add_u32 v40, v40, 3, 0
	v_add_nc_u32_e32 v54, s9, v43
	v_and_b32_e32 v59, 0xf8, v53
	v_and_b32_e32 v19, 0xf8, v19
	v_fma_f32 v58, 0xbf27a4f4, v44, -v64
	ds_read_b64 v[43:44], v40 offset:10648
	ds_read_b64 v[53:54], v54 offset:256
	v_add_f32_e32 v36, v51, v36
	v_mul_f32_e32 v51, v21, v34
	v_add_nc_u32_e32 v34, s9, v59
	v_add_nc_u32_e32 v19, s9, v19
	v_fma_f32 v21, 0xbf75a155, v56, -v76
	v_add_f32_e32 v56, v58, v36
	ds_read_b64 v[36:37], v34 offset:512
	ds_read_b64 v[39:40], v19 offset:512
	v_lshrrev_b32_e32 v19, 2, v17
	v_and_b32_e32 v17, 31, v17
	v_add_f32_e32 v34, v61, v112
	v_add_f32_e32 v13, v35, v13
	v_fmac_f32_e32 v70, 0xbf75a155, v55
	v_and_b32_e32 v19, 0xf8, v19
	v_lshl_add_u32 v17, v17, 3, 0
	v_add_f32_e32 v21, v21, v56
	v_add_f32_e32 v13, v13, v15
	v_fmac_f32_e32 v51, v57, v20
	v_add_nc_u32_e32 v19, s9, v19
	s_waitcnt lgkmcnt(2)
	v_mul_f32_e32 v41, v44, v54
	v_mul_f32_e32 v42, v43, v54
	v_add_f32_e32 v54, v12, v32
	ds_read_b64 v[11:12], v17 offset:10648
	ds_read_b64 v[32:33], v19 offset:256
	v_add_f32_e32 v13, v13, v31
	v_fma_f32 v17, v43, v53, -v41
	v_fmac_f32_e32 v42, v44, v53
	v_add_f32_e32 v19, v54, v30
	v_add_f32_e32 v30, v63, v34
	;; [unrolled: 1-line block ×3, first 2 shown]
	v_fmac_f32_e32 v9, v68, v74
	s_waitcnt lgkmcnt(2)
	v_mul_f32_e32 v34, v42, v40
	v_add_f32_e32 v19, v19, v28
	v_add_f32_e32 v15, v69, v30
	v_mul_f32_e32 v30, v17, v40
	v_add_f32_e32 v13, v13, v16
	v_fma_f32 v28, v39, v17, -v34
	v_add_f32_e32 v19, v19, v27
	v_add_f32_e32 v27, v70, v15
	v_fmac_f32_e32 v30, v39, v42
	v_add_f32_e32 v14, v13, v14
	v_add_f32_e32 v15, v19, v26
	s_waitcnt lgkmcnt(0)
	v_mul_f32_e32 v17, v11, v33
	v_mul_f32_e32 v19, v12, v33
	v_mad_u32_u24 v26, 0x79, v0, v18
	v_fmac_f32_e32 v17, v12, v32
	v_add_f32_e32 v12, v15, v25
	v_fma_f32 v19, v11, v32, -v19
	v_mad_u64_u32 v[15:16], null, s0, v26, 0
	v_mul_f32_e32 v25, v17, v37
	v_add_f32_e32 v23, v12, v23
	v_mul_f32_e32 v18, v19, v37
	v_mad_u64_u32 v[11:12], null, s2, v24, 0
	v_fma_f32 v25, v36, v19, -v25
	v_add_f32_e32 v22, v23, v22
	v_fmac_f32_e32 v18, v36, v17
	v_mul_f32_e32 v23, v27, v30
	v_add_nc_u32_e32 v31, 33, v26
	v_add_nc_u32_e32 v32, 44, v26
	v_mov_b32_e32 v0, v12
	v_mov_b32_e32 v12, v16
	v_mul_f32_e32 v13, v14, v18
	v_mul_f32_e32 v29, v22, v18
	v_fma_f32 v19, v21, v28, -v23
	v_mad_u64_u32 v[16:17], null, s3, v24, v[0:1]
	v_mad_u64_u32 v[17:18], null, s1, v26, v[12:13]
	s_lshl_b64 s[2:3], s[6:7], 3
	v_mul_f32_e32 v18, v21, v30
	s_add_u32 s6, s18, s2
	s_addc_u32 s7, s19, s3
	v_mov_b32_e32 v12, v16
	s_lshl_b64 s[2:3], s[4:5], 3
	v_mov_b32_e32 v16, v17
	v_add_nc_u32_e32 v17, 11, v26
	v_add_nc_u32_e32 v24, 22, v26
	v_lshlrev_b64 v[11:12], 3, v[11:12]
	s_add_u32 s2, s6, s2
	v_fma_f32 v14, v14, v25, -v29
	v_mad_u64_u32 v[20:21], null, s0, v17, 0
	s_addc_u32 s3, s7, s3
	v_add_co_u32 v29, vcc_lo, s2, v11
	v_add_co_ci_u32_e32 v30, vcc_lo, s3, v12, vcc_lo
	v_lshlrev_b64 v[11:12], 3, v[15:16]
	v_mad_u64_u32 v[15:16], null, s0, v24, 0
	v_mov_b32_e32 v0, v21
	v_fmac_f32_e32 v13, v22, v25
	v_fmac_f32_e32 v18, v27, v28
	v_add_co_u32 v11, vcc_lo, v29, v11
	v_mad_u64_u32 v[21:22], null, s1, v17, v[0:1]
	v_mov_b32_e32 v0, v16
	v_mad_u64_u32 v[22:23], null, s0, v31, 0
	v_add_co_ci_u32_e32 v12, vcc_lo, v30, v12, vcc_lo
	v_mad_u64_u32 v[16:17], null, s1, v24, v[0:1]
	v_mad_u64_u32 v[24:25], null, s0, v32, 0
	v_mov_b32_e32 v0, v23
	v_add_nc_u32_e32 v27, 55, v26
	global_store_dwordx2 v[11:12], v[13:14], off
	v_lshlrev_b64 v[11:12], 3, v[20:21]
	v_mad_u64_u32 v[13:14], null, s1, v31, v[0:1]
	v_mov_b32_e32 v0, v25
	v_mad_u64_u32 v[20:21], null, s0, v27, 0
	v_lshlrev_b64 v[14:15], 3, v[15:16]
	v_add_co_u32 v11, vcc_lo, v29, v11
	v_mad_u64_u32 v[16:17], null, s1, v32, v[0:1]
	v_add_co_ci_u32_e32 v12, vcc_lo, v30, v12, vcc_lo
	v_mov_b32_e32 v23, v13
	v_add_co_u32 v13, vcc_lo, v29, v14
	v_mov_b32_e32 v0, v21
	v_add_co_ci_u32_e32 v14, vcc_lo, v30, v15, vcc_lo
	v_mov_b32_e32 v25, v16
	global_store_dwordx2 v[11:12], v[18:19], off
	v_lshlrev_b64 v[11:12], 3, v[22:23]
	v_mad_u64_u32 v[15:16], null, s1, v27, v[0:1]
	global_store_dwordx2 v[13:14], v[51:52], off
	v_lshlrev_b64 v[13:14], 3, v[24:25]
	v_add_nc_u32_e32 v19, 0x42, v26
	v_add_co_u32 v11, vcc_lo, v29, v11
	v_add_co_ci_u32_e32 v12, vcc_lo, v30, v12, vcc_lo
	v_add_co_u32 v13, vcc_lo, v29, v13
	v_mov_b32_e32 v21, v15
	v_mad_u64_u32 v[15:16], null, s0, v19, 0
	v_add_co_ci_u32_e32 v14, vcc_lo, v30, v14, vcc_lo
	v_add_nc_u32_e32 v22, 0x4d, v26
	v_add_nc_u32_e32 v23, 0x58, v26
	global_store_dwordx2 v[11:12], v[49:50], off
	global_store_dwordx2 v[13:14], v[47:48], off
	v_mov_b32_e32 v0, v16
	v_mad_u64_u32 v[13:14], null, s0, v22, 0
	v_mad_u64_u32 v[17:18], null, s0, v23, 0
	v_add_nc_u32_e32 v27, 0x63, v26
	v_lshlrev_b64 v[11:12], 3, v[20:21]
	v_mad_u64_u32 v[19:20], null, s1, v19, v[0:1]
	v_mad_u64_u32 v[20:21], null, s1, v22, v[14:15]
	v_mov_b32_e32 v0, v18
	v_mad_u64_u32 v[21:22], null, s0, v27, 0
	v_add_nc_u32_e32 v26, 0x6e, v26
	v_add_co_u32 v11, vcc_lo, v29, v11
	v_mad_u64_u32 v[23:24], null, s1, v23, v[0:1]
	v_mad_u64_u32 v[24:25], null, s0, v26, 0
	v_add_co_ci_u32_e32 v12, vcc_lo, v30, v12, vcc_lo
	v_mov_b32_e32 v16, v19
	v_mov_b32_e32 v0, v22
	;; [unrolled: 1-line block ×3, first 2 shown]
	global_store_dwordx2 v[11:12], v[45:46], off
	v_mov_b32_e32 v18, v23
	v_lshlrev_b64 v[11:12], 3, v[15:16]
	v_mad_u64_u32 v[15:16], null, s1, v27, v[0:1]
	v_mov_b32_e32 v0, v25
	v_lshlrev_b64 v[13:14], 3, v[13:14]
	v_lshlrev_b64 v[16:17], 3, v[17:18]
	v_add_co_u32 v11, vcc_lo, v29, v11
	v_mad_u64_u32 v[19:20], null, s1, v26, v[0:1]
	v_mov_b32_e32 v22, v15
	v_add_co_ci_u32_e32 v12, vcc_lo, v30, v12, vcc_lo
	v_add_co_u32 v13, vcc_lo, v29, v13
	v_add_co_ci_u32_e32 v14, vcc_lo, v30, v14, vcc_lo
	v_mov_b32_e32 v25, v19
	v_lshlrev_b64 v[20:21], 3, v[21:22]
	v_add_co_u32 v15, vcc_lo, v29, v16
	v_add_co_ci_u32_e32 v16, vcc_lo, v30, v17, vcc_lo
	v_lshlrev_b64 v[17:18], 3, v[24:25]
	v_add_co_u32 v19, vcc_lo, v29, v20
	v_add_co_ci_u32_e32 v20, vcc_lo, v30, v21, vcc_lo
	v_add_co_u32 v17, vcc_lo, v29, v17
	v_add_co_ci_u32_e32 v18, vcc_lo, v30, v18, vcc_lo
	global_store_dwordx2 v[11:12], v[9:10], off
	global_store_dwordx2 v[13:14], v[7:8], off
	;; [unrolled: 1-line block ×5, first 2 shown]
.LBB0_18:
	s_endpgm
	.section	.rodata,"a",@progbits
	.p2align	6, 0x0
	.amdhsa_kernel fft_rtc_back_len121_factors_11_11_wgs_121_tpt_11_sp_op_CI_CI_sbcc_twdbase5_3step_dirReg
		.amdhsa_group_segment_fixed_size 0
		.amdhsa_private_segment_fixed_size 0
		.amdhsa_kernarg_size 112
		.amdhsa_user_sgpr_count 6
		.amdhsa_user_sgpr_private_segment_buffer 1
		.amdhsa_user_sgpr_dispatch_ptr 0
		.amdhsa_user_sgpr_queue_ptr 0
		.amdhsa_user_sgpr_kernarg_segment_ptr 1
		.amdhsa_user_sgpr_dispatch_id 0
		.amdhsa_user_sgpr_flat_scratch_init 0
		.amdhsa_user_sgpr_private_segment_size 0
		.amdhsa_wavefront_size32 1
		.amdhsa_uses_dynamic_stack 0
		.amdhsa_system_sgpr_private_segment_wavefront_offset 0
		.amdhsa_system_sgpr_workgroup_id_x 1
		.amdhsa_system_sgpr_workgroup_id_y 0
		.amdhsa_system_sgpr_workgroup_id_z 0
		.amdhsa_system_sgpr_workgroup_info 0
		.amdhsa_system_vgpr_workitem_id 0
		.amdhsa_next_free_vgpr 114
		.amdhsa_next_free_sgpr 57
		.amdhsa_reserve_vcc 1
		.amdhsa_reserve_flat_scratch 0
		.amdhsa_float_round_mode_32 0
		.amdhsa_float_round_mode_16_64 0
		.amdhsa_float_denorm_mode_32 3
		.amdhsa_float_denorm_mode_16_64 3
		.amdhsa_dx10_clamp 1
		.amdhsa_ieee_mode 1
		.amdhsa_fp16_overflow 0
		.amdhsa_workgroup_processor_mode 1
		.amdhsa_memory_ordered 1
		.amdhsa_forward_progress 0
		.amdhsa_shared_vgpr_count 0
		.amdhsa_exception_fp_ieee_invalid_op 0
		.amdhsa_exception_fp_denorm_src 0
		.amdhsa_exception_fp_ieee_div_zero 0
		.amdhsa_exception_fp_ieee_overflow 0
		.amdhsa_exception_fp_ieee_underflow 0
		.amdhsa_exception_fp_ieee_inexact 0
		.amdhsa_exception_int_div_zero 0
	.end_amdhsa_kernel
	.text
.Lfunc_end0:
	.size	fft_rtc_back_len121_factors_11_11_wgs_121_tpt_11_sp_op_CI_CI_sbcc_twdbase5_3step_dirReg, .Lfunc_end0-fft_rtc_back_len121_factors_11_11_wgs_121_tpt_11_sp_op_CI_CI_sbcc_twdbase5_3step_dirReg
                                        ; -- End function
	.section	.AMDGPU.csdata,"",@progbits
; Kernel info:
; codeLenInByte = 9108
; NumSgprs: 59
; NumVgprs: 114
; ScratchSize: 0
; MemoryBound: 0
; FloatMode: 240
; IeeeMode: 1
; LDSByteSize: 0 bytes/workgroup (compile time only)
; SGPRBlocks: 7
; VGPRBlocks: 14
; NumSGPRsForWavesPerEU: 59
; NumVGPRsForWavesPerEU: 114
; Occupancy: 8
; WaveLimiterHint : 1
; COMPUTE_PGM_RSRC2:SCRATCH_EN: 0
; COMPUTE_PGM_RSRC2:USER_SGPR: 6
; COMPUTE_PGM_RSRC2:TRAP_HANDLER: 0
; COMPUTE_PGM_RSRC2:TGID_X_EN: 1
; COMPUTE_PGM_RSRC2:TGID_Y_EN: 0
; COMPUTE_PGM_RSRC2:TGID_Z_EN: 0
; COMPUTE_PGM_RSRC2:TIDIG_COMP_CNT: 0
	.text
	.p2alignl 6, 3214868480
	.fill 48, 4, 3214868480
	.type	__hip_cuid_e000f6be431e2cf1,@object ; @__hip_cuid_e000f6be431e2cf1
	.section	.bss,"aw",@nobits
	.globl	__hip_cuid_e000f6be431e2cf1
__hip_cuid_e000f6be431e2cf1:
	.byte	0                               ; 0x0
	.size	__hip_cuid_e000f6be431e2cf1, 1

	.ident	"AMD clang version 19.0.0git (https://github.com/RadeonOpenCompute/llvm-project roc-6.4.0 25133 c7fe45cf4b819c5991fe208aaa96edf142730f1d)"
	.section	".note.GNU-stack","",@progbits
	.addrsig
	.addrsig_sym __hip_cuid_e000f6be431e2cf1
	.amdgpu_metadata
---
amdhsa.kernels:
  - .args:
      - .actual_access:  read_only
        .address_space:  global
        .offset:         0
        .size:           8
        .value_kind:     global_buffer
      - .address_space:  global
        .offset:         8
        .size:           8
        .value_kind:     global_buffer
      - .offset:         16
        .size:           8
        .value_kind:     by_value
      - .actual_access:  read_only
        .address_space:  global
        .offset:         24
        .size:           8
        .value_kind:     global_buffer
      - .actual_access:  read_only
        .address_space:  global
        .offset:         32
        .size:           8
        .value_kind:     global_buffer
      - .actual_access:  read_only
        .address_space:  global
        .offset:         40
        .size:           8
        .value_kind:     global_buffer
      - .offset:         48
        .size:           8
        .value_kind:     by_value
      - .actual_access:  read_only
        .address_space:  global
        .offset:         56
        .size:           8
        .value_kind:     global_buffer
      - .actual_access:  read_only
        .address_space:  global
        .offset:         64
        .size:           8
        .value_kind:     global_buffer
      - .offset:         72
        .size:           4
        .value_kind:     by_value
      - .actual_access:  read_only
        .address_space:  global
        .offset:         80
        .size:           8
        .value_kind:     global_buffer
      - .actual_access:  read_only
        .address_space:  global
        .offset:         88
        .size:           8
        .value_kind:     global_buffer
      - .actual_access:  read_only
        .address_space:  global
        .offset:         96
        .size:           8
        .value_kind:     global_buffer
      - .actual_access:  write_only
        .address_space:  global
        .offset:         104
        .size:           8
        .value_kind:     global_buffer
    .group_segment_fixed_size: 0
    .kernarg_segment_align: 8
    .kernarg_segment_size: 112
    .language:       OpenCL C
    .language_version:
      - 2
      - 0
    .max_flat_workgroup_size: 121
    .name:           fft_rtc_back_len121_factors_11_11_wgs_121_tpt_11_sp_op_CI_CI_sbcc_twdbase5_3step_dirReg
    .private_segment_fixed_size: 0
    .sgpr_count:     59
    .sgpr_spill_count: 0
    .symbol:         fft_rtc_back_len121_factors_11_11_wgs_121_tpt_11_sp_op_CI_CI_sbcc_twdbase5_3step_dirReg.kd
    .uniform_work_group_size: 1
    .uses_dynamic_stack: false
    .vgpr_count:     114
    .vgpr_spill_count: 0
    .wavefront_size: 32
    .workgroup_processor_mode: 1
amdhsa.target:   amdgcn-amd-amdhsa--gfx1030
amdhsa.version:
  - 1
  - 2
...

	.end_amdgpu_metadata
